;; amdgpu-corpus repo=ROCm/rocFFT kind=compiled arch=gfx1030 opt=O3
	.text
	.amdgcn_target "amdgcn-amd-amdhsa--gfx1030"
	.amdhsa_code_object_version 6
	.protected	bluestein_single_back_len686_dim1_sp_op_CI_CI ; -- Begin function bluestein_single_back_len686_dim1_sp_op_CI_CI
	.globl	bluestein_single_back_len686_dim1_sp_op_CI_CI
	.p2align	8
	.type	bluestein_single_back_len686_dim1_sp_op_CI_CI,@function
bluestein_single_back_len686_dim1_sp_op_CI_CI: ; @bluestein_single_back_len686_dim1_sp_op_CI_CI
; %bb.0:
	s_load_dwordx4 s[16:19], s[4:5], 0x28
	v_mul_u32_u24_e32 v1, 0x53a, v0
	v_mov_b32_e32 v71, 0
	s_mov_b32 s0, exec_lo
	v_lshrrev_b32_e32 v1, 16, v1
	v_add_nc_u32_e32 v70, s6, v1
	s_waitcnt lgkmcnt(0)
	v_cmpx_gt_u64_e64 s[16:17], v[70:71]
	s_cbranch_execz .LBB0_2
; %bb.1:
	s_clause 0x1
	s_load_dwordx4 s[0:3], s[4:5], 0x18
	s_load_dwordx4 s[8:11], s[4:5], 0x0
	v_mul_lo_u16 v1, v1, 49
	v_mov_b32_e32 v38, 3
	s_load_dwordx2 s[4:5], s[4:5], 0x38
	v_sub_nc_u16 v28, v0, v1
	v_and_b32_e32 v115, 0xffff, v28
	v_and_b32_e32 v29, 0xff, v28
	v_lshlrev_b32_e32 v111, 3, v115
	v_add_co_u32 v35, null, v115, 49
	s_waitcnt lgkmcnt(0)
	s_load_dwordx4 s[12:15], s[0:1], 0x0
	v_mul_lo_u16 v29, v29, 37
	v_add_co_u32 v40, s0, s8, v111
	v_add_co_ci_u32_e64 v41, null, s9, 0, s0
	global_load_dwordx2 v[42:43], v111, s[8:9]
	v_add_co_u32 v10, vcc_lo, 0x800, v40
	v_add_co_ci_u32_e32 v11, vcc_lo, 0, v41, vcc_lo
	s_clause 0x4
	global_load_dwordx2 v[44:45], v111, s[8:9] offset:1176
	global_load_dwordx2 v[46:47], v111, s[8:9] offset:784
	;; [unrolled: 1-line block ×5, first 2 shown]
	v_and_b32_e32 v30, 0xff, v35
	global_load_dwordx2 v[54:55], v[10:11], off offset:304
	v_lshrrev_b16 v29, 8, v29
	v_add_nc_u32_e32 v113, 0xc00, v111
	v_add_nc_u32_e32 v112, 0x1000, v111
	v_mul_lo_u16 v30, v30, 37
	v_add_nc_u32_e32 v114, 0x800, v111
	s_waitcnt lgkmcnt(0)
	v_mad_u64_u32 v[0:1], null, s14, v70, 0
	v_mad_u64_u32 v[2:3], null, s12, v115, 0
	s_mul_i32 s0, s13, 0x310
	s_mul_hi_u32 s1, s12, 0x310
	s_mul_i32 s6, s12, 0x310
	s_add_i32 s1, s1, s0
	s_mul_i32 s0, s13, 0xffffef28
	v_lshrrev_b16 v30, 8, v30
	v_mad_u64_u32 v[4:5], null, s15, v70, v[1:2]
	s_sub_i32 s0, s0, s12
	v_sub_nc_u16 v31, v28, v29
	v_sub_nc_u16 v32, v35, v30
	v_lshrrev_b16 v31, 1, v31
	v_mad_u64_u32 v[5:6], null, s13, v115, v[3:4]
	v_mov_b32_e32 v1, v4
	v_lshrrev_b16 v32, 1, v32
	v_and_b32_e32 v31, 0x7f, v31
	v_lshlrev_b64 v[0:1], 3, v[0:1]
	v_mov_b32_e32 v3, v5
	v_and_b32_e32 v32, 0x7f, v32
	v_add_nc_u16 v29, v31, v29
	v_lshlrev_b64 v[2:3], 3, v[2:3]
	v_add_co_u32 v0, vcc_lo, s18, v0
	v_add_co_ci_u32_e32 v1, vcc_lo, s19, v1, vcc_lo
	v_add_nc_u16 v31, v32, v30
	v_add_co_u32 v0, vcc_lo, v0, v2
	v_add_co_ci_u32_e32 v1, vcc_lo, v1, v3, vcc_lo
	v_lshrrev_b16 v30, 2, v29
	v_add_co_u32 v2, vcc_lo, v0, s6
	v_add_co_ci_u32_e32 v3, vcc_lo, s1, v1, vcc_lo
	v_add_co_u32 v36, vcc_lo, 0x1000, v40
	v_add_co_ci_u32_e32 v37, vcc_lo, 0, v41, vcc_lo
	;; [unrolled: 2-line block ×3, first 2 shown]
	global_load_dwordx2 v[4:5], v[2:3], off
	v_add_co_u32 v8, vcc_lo, v6, s6
	v_add_co_ci_u32_e32 v9, vcc_lo, s1, v7, vcc_lo
	global_load_dwordx2 v[2:3], v[0:1], off
	v_add_co_u32 v12, vcc_lo, v8, s6
	v_add_co_ci_u32_e32 v13, vcc_lo, s1, v9, vcc_lo
	global_load_dwordx2 v[0:1], v[6:7], off
	v_add_co_u32 v14, vcc_lo, v12, s6
	v_add_co_ci_u32_e32 v15, vcc_lo, s1, v13, vcc_lo
	global_load_dwordx2 v[56:57], v[10:11], off offset:1872
	s_clause 0x1
	global_load_dwordx2 v[8:9], v[8:9], off
	global_load_dwordx2 v[6:7], v[12:13], off
	v_add_co_u32 v16, vcc_lo, v14, s6
	v_add_co_ci_u32_e32 v17, vcc_lo, s1, v15, vcc_lo
	s_clause 0x3
	global_load_dwordx2 v[60:61], v[10:11], off offset:1088
	global_load_dwordx2 v[58:59], v[36:37], off offset:608
	;; [unrolled: 1-line block ×4, first 2 shown]
	global_load_dwordx2 v[22:23], v[14:15], off
	v_mad_u64_u32 v[12:13], null, 0xffffef28, s12, v[16:17]
	global_load_dwordx2 v[20:21], v[16:17], off
	v_lshrrev_b16 v29, 2, v31
	v_mul_lo_u16 v31, v30, 7
	v_add_nc_u32_e32 v13, s0, v13
	v_add_co_u32 v10, vcc_lo, v12, s6
	v_mul_lo_u16 v32, v29, 7
	v_sub_nc_u16 v39, v28, v31
	v_add_co_ci_u32_e32 v11, vcc_lo, s1, v13, vcc_lo
	global_load_dwordx2 v[16:17], v[12:13], off
	v_add_co_u32 v12, vcc_lo, v10, s6
	v_add_co_ci_u32_e32 v13, vcc_lo, s1, v11, vcc_lo
	global_load_dwordx2 v[18:19], v[10:11], off
	v_add_co_u32 v14, vcc_lo, v12, s6
	v_add_co_ci_u32_e32 v15, vcc_lo, s1, v13, vcc_lo
	global_load_dwordx2 v[10:11], v[12:13], off
	v_add_co_u32 v24, vcc_lo, v14, s6
	v_add_co_ci_u32_e32 v25, vcc_lo, s1, v15, vcc_lo
	global_load_dwordx2 v[12:13], v[14:15], off
	v_add_co_u32 v26, vcc_lo, v24, s6
	v_add_co_ci_u32_e32 v27, vcc_lo, s1, v25, vcc_lo
	global_load_dwordx2 v[14:15], v[24:25], off
	v_add_co_u32 v24, vcc_lo, v26, s6
	v_add_co_ci_u32_e32 v25, vcc_lo, s1, v27, vcc_lo
	s_clause 0x1
	global_load_dwordx2 v[66:67], v[36:37], off offset:1000
	global_load_dwordx2 v[68:69], v[36:37], off offset:216
	global_load_dwordx2 v[26:27], v[26:27], off
	global_load_dwordx2 v[24:25], v[24:25], off
	v_sub_nc_u16 v71, v35, v32
	s_load_dwordx4 s[0:3], s[2:3], 0x0
	s_waitcnt lgkmcnt(0)
	s_mul_hi_u32 s6, s0, 0x310
	s_waitcnt vmcnt(20)
	v_mul_f32_e32 v31, v5, v47
	v_mul_f32_e32 v34, v4, v47
	s_waitcnt vmcnt(19)
	v_mul_f32_e32 v33, v3, v43
	v_mul_f32_e32 v72, v2, v43
	v_fmac_f32_e32 v31, v4, v46
	v_fma_f32 v32, v5, v46, -v34
	s_waitcnt vmcnt(18)
	v_mul_f32_e32 v4, v1, v53
	v_fmac_f32_e32 v33, v2, v42
	v_mul_f32_e32 v2, v0, v53
	v_fma_f32 v34, v3, v42, -v72
	ds_write_b64 v111, v[31:32] offset:784
	v_fmac_f32_e32 v4, v0, v52
	s_waitcnt vmcnt(16)
	v_mul_f32_e32 v0, v9, v55
	v_mul_f32_e32 v3, v8, v55
	v_fma_f32 v5, v1, v52, -v2
	s_waitcnt vmcnt(14)
	v_mul_f32_e32 v2, v7, v61
	v_mul_f32_e32 v31, v6, v61
	v_fmac_f32_e32 v0, v8, v54
	v_fma_f32 v1, v9, v54, -v3
	ds_write_b64 v111, v[4:5] offset:1568
	v_fmac_f32_e32 v2, v6, v60
	v_fma_f32 v3, v7, v60, -v31
	s_waitcnt vmcnt(10)
	v_mul_f32_e32 v4, v23, v57
	ds_write_b64 v111, v[0:1] offset:2352
	v_mul_f32_e32 v1, v22, v57
	s_waitcnt vmcnt(9)
	v_mul_f32_e32 v0, v21, v59
	ds_write_b64 v111, v[2:3] offset:3136
	v_mul_f32_e32 v3, v20, v59
	v_fmac_f32_e32 v4, v22, v56
	v_fma_f32 v5, v23, v56, -v1
	v_fmac_f32_e32 v0, v20, v58
	v_fma_f32 v1, v21, v58, -v3
	s_waitcnt vmcnt(8)
	v_mul_f32_e32 v2, v17, v49
	v_mul_f32_e32 v7, v16, v49
	ds_write_b64 v111, v[4:5] offset:3920
	s_waitcnt vmcnt(7)
	v_mul_f32_e32 v6, v19, v45
	v_mul_f32_e32 v8, v18, v45
	v_fmac_f32_e32 v2, v16, v48
	v_fma_f32 v3, v17, v48, -v7
	ds_write_b64 v111, v[0:1] offset:4704
	ds_write2_b64 v111, v[33:34], v[2:3] offset1:49
	v_fmac_f32_e32 v6, v18, v44
	v_fma_f32 v7, v19, v44, -v8
	s_waitcnt vmcnt(6)
	v_mul_f32_e32 v0, v11, v51
	v_mul_f32_e32 v1, v10, v51
	s_waitcnt vmcnt(5)
	v_mul_f32_e32 v2, v13, v65
	v_mul_f32_e32 v3, v12, v65
	ds_write_b64 v111, v[6:7] offset:1176
	s_waitcnt vmcnt(4)
	v_mul_f32_e32 v4, v15, v63
	v_mul_f32_e32 v5, v14, v63
	v_fmac_f32_e32 v0, v10, v50
	v_fma_f32 v1, v11, v50, -v1
	s_waitcnt vmcnt(1)
	v_mul_f32_e32 v6, v27, v69
	v_mul_f32_e32 v7, v26, v69
	s_waitcnt vmcnt(0)
	v_mul_f32_e32 v8, v25, v67
	v_mul_f32_e32 v9, v24, v67
	v_fmac_f32_e32 v2, v12, v64
	v_fma_f32 v3, v13, v64, -v3
	v_fmac_f32_e32 v4, v14, v62
	v_fma_f32 v5, v15, v62, -v5
	;; [unrolled: 2-line block ×4, first 2 shown]
	ds_write_b64 v111, v[0:1] offset:1960
	ds_write_b64 v111, v[2:3] offset:2744
	;; [unrolled: 1-line block ×5, first 2 shown]
	s_waitcnt lgkmcnt(0)
	s_barrier
	buffer_gl0_inv
	ds_read2_b64 v[0:3], v111 offset0:98 offset1:147
	ds_read2_b64 v[4:7], v112 offset0:76 offset1:125
	v_mul_lo_u16 v16, v28, 7
	ds_read2_b64 v[8:11], v111 offset0:196 offset1:245
	ds_read2_b64 v[12:15], v113 offset0:106 offset1:155
	v_and_b32_e32 v24, 0xff, v39
	v_mul_u32_u24_e32 v26, 7, v35
	v_and_b32_e32 v25, 0xff, v71
	v_lshlrev_b32_sdwa v116, v38, v16 dst_sel:DWORD dst_unused:UNUSED_PAD src0_sel:DWORD src1_sel:WORD_0
	ds_read2_b64 v[16:19], v114 offset0:38 offset1:87
	ds_read2_b64 v[20:23], v114 offset0:136 offset1:185
	v_mul_u32_u24_e32 v27, 6, v24
	ds_read2_b64 v[31:34], v111 offset1:49
	v_lshlrev_b32_e32 v117, 3, v26
	v_mul_u32_u24_e32 v28, 6, v25
	s_waitcnt lgkmcnt(0)
	v_lshlrev_b32_e32 v35, 3, v27
	s_barrier
	buffer_gl0_inv
	v_lshlrev_b32_e32 v28, 3, v28
	v_add_f32_e32 v26, v0, v4
	v_add_f32_e32 v27, v1, v5
	v_sub_f32_e32 v0, v0, v4
	v_sub_f32_e32 v1, v1, v5
	v_add_f32_e32 v4, v8, v12
	v_add_f32_e32 v5, v2, v6
	v_sub_f32_e32 v2, v2, v6
	v_add_f32_e32 v6, v9, v13
	v_add_f32_e32 v38, v3, v7
	v_sub_f32_e32 v3, v3, v7
	v_sub_f32_e32 v7, v8, v12
	;; [unrolled: 1-line block ×3, first 2 shown]
	v_add_f32_e32 v12, v10, v14
	v_add_f32_e32 v13, v11, v15
	;; [unrolled: 1-line block ×3, first 2 shown]
	v_sub_f32_e32 v10, v10, v14
	v_sub_f32_e32 v11, v11, v15
	v_add_f32_e32 v14, v17, v21
	v_sub_f32_e32 v15, v20, v16
	v_sub_f32_e32 v16, v21, v17
	v_add_f32_e32 v17, v18, v22
	v_sub_f32_e32 v18, v22, v18
	v_add_f32_e32 v21, v4, v26
	v_add_f32_e32 v22, v6, v27
	;; [unrolled: 1-line block ×3, first 2 shown]
	v_sub_f32_e32 v19, v23, v19
	v_add_f32_e32 v23, v12, v5
	v_add_f32_e32 v39, v13, v38
	v_sub_f32_e32 v71, v4, v26
	v_sub_f32_e32 v26, v26, v9
	;; [unrolled: 1-line block ×6, first 2 shown]
	v_add_f32_e32 v75, v15, v7
	v_sub_f32_e32 v76, v15, v7
	v_sub_f32_e32 v7, v7, v0
	v_add_f32_e32 v77, v16, v8
	v_sub_f32_e32 v78, v16, v8
	v_add_f32_e32 v79, v18, v10
	;; [unrolled: 2-line block ×3, first 2 shown]
	v_add_f32_e32 v14, v14, v22
	v_sub_f32_e32 v8, v8, v1
	v_add_f32_e32 v81, v19, v11
	v_sub_f32_e32 v73, v12, v5
	v_sub_f32_e32 v5, v5, v17
	;; [unrolled: 1-line block ×9, first 2 shown]
	v_add_f32_e32 v17, v17, v23
	v_add_f32_e32 v20, v20, v39
	v_sub_f32_e32 v15, v0, v15
	v_sub_f32_e32 v16, v1, v16
	v_add_f32_e32 v21, v75, v0
	v_add_f32_e32 v22, v77, v1
	;; [unrolled: 1-line block ×3, first 2 shown]
	v_mul_f32_e32 v26, 0x3f4a47b2, v26
	v_mul_f32_e32 v75, 0x3d64c772, v4
	;; [unrolled: 1-line block ×7, first 2 shown]
	v_add_f32_e32 v0, v31, v9
	v_add_f32_e32 v1, v32, v14
	;; [unrolled: 1-line block ×3, first 2 shown]
	v_mul_f32_e32 v77, 0x3d64c772, v6
	v_mul_f32_e32 v81, 0xbf5ff5aa, v8
	v_sub_f32_e32 v18, v2, v18
	v_sub_f32_e32 v19, v3, v19
	v_mul_f32_e32 v5, 0x3f4a47b2, v5
	v_mul_f32_e32 v83, 0x3d64c772, v12
	v_mul_f32_e32 v38, 0x3f4a47b2, v38
	v_mul_f32_e32 v84, 0x3d64c772, v13
	v_mul_f32_e32 v85, 0xbf5ff5aa, v10
	v_mul_f32_e32 v82, 0xbf08b237, v82
	v_mul_f32_e32 v86, 0xbf5ff5aa, v11
	v_add_f32_e32 v2, v33, v17
	v_add_f32_e32 v3, v34, v20
	v_fmamk_f32 v4, v4, 0x3d64c772, v26
	v_fma_f32 v31, 0x3f3bfb3b, v71, -v75
	v_fma_f32 v26, 0xbf3bfb3b, v71, -v26
	v_fmamk_f32 v6, v6, 0x3d64c772, v27
	v_fma_f32 v7, 0x3f5ff5aa, v7, -v76
	v_fmamk_f32 v33, v15, 0x3eae86e6, v76
	v_fmac_f32_e32 v79, 0xbeae86e6, v15
	v_fmamk_f32 v15, v16, 0x3eae86e6, v78
	v_fma_f32 v71, 0x3f5ff5aa, v10, -v80
	v_fmamk_f32 v9, v9, 0xbf955555, v0
	v_fmamk_f32 v10, v14, 0xbf955555, v1
	v_fma_f32 v32, 0x3f3bfb3b, v72, -v77
	v_fma_f32 v27, 0xbf3bfb3b, v72, -v27
	;; [unrolled: 1-line block ×3, first 2 shown]
	v_fmac_f32_e32 v81, 0xbeae86e6, v16
	v_fmamk_f32 v12, v12, 0x3d64c772, v5
	v_fma_f32 v16, 0x3f3bfb3b, v73, -v83
	v_fma_f32 v5, 0xbf3bfb3b, v73, -v5
	v_fmamk_f32 v13, v13, 0x3d64c772, v38
	v_fma_f32 v34, 0x3f3bfb3b, v74, -v84
	v_fma_f32 v38, 0xbf3bfb3b, v74, -v38
	v_fmamk_f32 v72, v18, 0x3eae86e6, v80
	v_fmac_f32_e32 v85, 0xbeae86e6, v18
	v_fma_f32 v18, 0x3f5ff5aa, v11, -v82
	v_fmamk_f32 v73, v19, 0x3eae86e6, v82
	v_fmac_f32_e32 v86, 0xbeae86e6, v19
	v_fmamk_f32 v11, v17, 0xbf955555, v2
	v_fmamk_f32 v14, v20, 0xbf955555, v3
	v_fmac_f32_e32 v33, 0x3ee1c552, v21
	v_fmac_f32_e32 v7, 0x3ee1c552, v21
	;; [unrolled: 1-line block ×4, first 2 shown]
	v_add_f32_e32 v17, v4, v9
	v_add_f32_e32 v21, v6, v10
	v_fmac_f32_e32 v8, 0x3ee1c552, v22
	v_fmac_f32_e32 v81, 0x3ee1c552, v22
	v_add_f32_e32 v19, v31, v9
	v_add_f32_e32 v20, v26, v9
	;; [unrolled: 1-line block ×4, first 2 shown]
	v_fmac_f32_e32 v72, 0x3ee1c552, v23
	v_fmac_f32_e32 v71, 0x3ee1c552, v23
	;; [unrolled: 1-line block ×6, first 2 shown]
	v_add_f32_e32 v31, v12, v11
	v_add_f32_e32 v32, v13, v14
	v_add_f32_e32 v23, v16, v11
	v_add_f32_e32 v26, v34, v14
	v_add_f32_e32 v27, v5, v11
	v_add_f32_e32 v34, v38, v14
	v_add_f32_e32 v12, v17, v15
	v_sub_f32_e32 v13, v21, v33
	v_sub_f32_e32 v4, v19, v8
	v_add_f32_e32 v5, v7, v9
	v_add_f32_e32 v6, v8, v19
	v_sub_f32_e32 v7, v9, v7
	v_add_f32_e32 v8, v81, v20
	v_sub_f32_e32 v9, v22, v79
	v_sub_f32_e32 v10, v20, v81
	v_add_f32_e32 v11, v79, v22
	v_sub_f32_e32 v14, v17, v15
	v_add_f32_e32 v15, v33, v21
	;; [unrolled: 2-line block ×3, first 2 shown]
	v_add_f32_e32 v18, v18, v23
	v_sub_f32_e32 v19, v26, v71
	v_add_f32_e32 v20, v86, v27
	v_sub_f32_e32 v21, v34, v85
	v_sub_f32_e32 v22, v27, v86
	v_add_f32_e32 v23, v85, v34
	v_add_f32_e32 v26, v31, v73
	v_sub_f32_e32 v27, v32, v72
	v_sub_f32_e32 v31, v31, v73
	v_add_f32_e32 v32, v72, v32
	ds_write2_b64 v116, v[0:1], v[12:13] offset1:1
	ds_write2_b64 v116, v[8:9], v[4:5] offset0:2 offset1:3
	ds_write2_b64 v116, v[6:7], v[10:11] offset0:4 offset1:5
	ds_write_b64 v116, v[14:15] offset:48
	ds_write2_b64 v117, v[2:3], v[26:27] offset1:1
	ds_write2_b64 v117, v[20:21], v[16:17] offset0:2 offset1:3
	ds_write2_b64 v117, v[18:19], v[22:23] offset0:4 offset1:5
	ds_write_b64 v117, v[31:32] offset:48
	s_waitcnt lgkmcnt(0)
	s_barrier
	buffer_gl0_inv
	s_clause 0x5
	global_load_dwordx4 v[8:11], v35, s[10:11]
	global_load_dwordx4 v[4:7], v28, s[10:11]
	global_load_dwordx4 v[0:3], v35, s[10:11] offset:16
	global_load_dwordx4 v[12:15], v28, s[10:11] offset:16
	;; [unrolled: 1-line block ×4, first 2 shown]
	v_mov_b32_e32 v26, 49
	ds_read2_b64 v[31:34], v111 offset0:98 offset1:147
	ds_read2_b64 v[71:74], v111 offset0:196 offset1:245
	;; [unrolled: 1-line block ×3, first 2 shown]
	v_mad_u64_u32 v[38:39], null, v115, 48, s[10:11]
	v_mul_u32_u24_sdwa v30, v30, v26 dst_sel:DWORD dst_unused:UNUSED_PAD src0_sel:WORD_0 src1_sel:DWORD
	v_mul_u32_u24_sdwa v35, v29, v26 dst_sel:DWORD dst_unused:UNUSED_PAD src0_sel:WORD_0 src1_sel:DWORD
	ds_read2_b64 v[26:29], v114 offset0:38 offset1:87
	ds_read2_b64 v[79:82], v113 offset0:106 offset1:155
	ds_read2_b64 v[83:86], v112 offset0:76 offset1:125
	ds_read2_b64 v[87:90], v111 offset1:49
	s_waitcnt vmcnt(0) lgkmcnt(0)
	v_add_lshl_u32 v119, v30, v24, 3
	v_add_lshl_u32 v118, v35, v25, 3
	s_barrier
	buffer_gl0_inv
	v_mul_f32_e32 v24, v32, v9
	v_mul_f32_e32 v25, v31, v9
	;; [unrolled: 1-line block ×24, first 2 shown]
	v_fma_f32 v24, v31, v8, -v24
	v_fmac_f32_e32 v25, v32, v8
	v_fma_f32 v30, v33, v4, -v30
	v_fma_f32 v31, v71, v10, -v91
	v_fmac_f32_e32 v92, v72, v10
	v_fma_f32 v33, v79, v16, -v103
	v_fmac_f32_e32 v104, v80, v16
	;; [unrolled: 2-line block ×3, first 2 shown]
	v_fmac_f32_e32 v35, v34, v4
	v_fma_f32 v32, v73, v6, -v93
	v_fmac_f32_e32 v94, v74, v6
	v_fma_f32 v34, v81, v20, -v105
	;; [unrolled: 2-line block ×7, first 2 shown]
	v_fmac_f32_e32 v102, v78, v14
	v_add_f32_e32 v73, v24, v71
	v_add_f32_e32 v74, v31, v33
	;; [unrolled: 1-line block ×11, first 2 shown]
	v_sub_f32_e32 v24, v24, v71
	v_sub_f32_e32 v31, v31, v33
	;; [unrolled: 1-line block ×10, first 2 shown]
	v_add_f32_e32 v71, v74, v73
	v_add_f32_e32 v72, v77, v76
	v_sub_f32_e32 v25, v25, v108
	v_sub_f32_e32 v35, v35, v110
	v_add_f32_e32 v84, v98, v102
	v_add_f32_e32 v85, v80, v79
	;; [unrolled: 1-line block ×3, first 2 shown]
	v_sub_f32_e32 v91, v73, v75
	v_sub_f32_e32 v93, v76, v78
	v_add_f32_e32 v95, v26, v31
	v_sub_f32_e32 v96, v26, v31
	v_sub_f32_e32 v97, v24, v26
	v_add_f32_e32 v26, v28, v33
	v_sub_f32_e32 v98, v28, v33
	v_add_f32_e32 v101, v27, v32
	;; [unrolled: 2-line block ×3, first 2 shown]
	v_add_f32_e32 v72, v78, v72
	v_sub_f32_e32 v92, v75, v74
	v_sub_f32_e32 v94, v78, v77
	;; [unrolled: 1-line block ×6, first 2 shown]
	v_add_f32_e32 v27, v29, v34
	v_sub_f32_e32 v34, v34, v35
	v_sub_f32_e32 v73, v74, v73
	;; [unrolled: 1-line block ×5, first 2 shown]
	v_add_f32_e32 v75, v81, v85
	v_add_f32_e32 v78, v84, v86
	v_sub_f32_e32 v28, v25, v28
	v_sub_f32_e32 v77, v81, v80
	;; [unrolled: 1-line block ×6, first 2 shown]
	v_add_f32_e32 v81, v95, v24
	v_add_f32_e32 v82, v26, v25
	v_mul_f32_e32 v83, 0x3f4a47b2, v91
	v_mul_f32_e32 v84, 0xbf08b237, v96
	;; [unrolled: 1-line block ×4, first 2 shown]
	v_add_f32_e32 v30, v101, v30
	v_mul_f32_e32 v101, 0xbf08b237, v104
	v_add_f32_e32 v24, v87, v71
	v_add_f32_e32 v25, v88, v72
	v_sub_f32_e32 v29, v35, v29
	v_mul_f32_e32 v91, 0x3d64c772, v92
	v_mul_f32_e32 v93, 0xbf5ff5aa, v31
	;; [unrolled: 1-line block ×5, first 2 shown]
	v_add_f32_e32 v35, v27, v35
	v_mul_f32_e32 v76, 0x3f4a47b2, v76
	v_mul_f32_e32 v98, 0xbf08b237, v102
	;; [unrolled: 1-line block ×3, first 2 shown]
	v_add_f32_e32 v26, v89, v75
	v_add_f32_e32 v27, v90, v78
	v_mul_f32_e32 v102, 0x3d64c772, v77
	v_mul_f32_e32 v104, 0xbf5ff5aa, v32
	v_mul_f32_e32 v106, 0x3d64c772, v100
	v_fmamk_f32 v87, v97, 0x3eae86e6, v84
	v_fmamk_f32 v88, v28, 0x3eae86e6, v86
	;; [unrolled: 1-line block ×4, first 2 shown]
	v_fma_f32 v94, 0x3f5ff5aa, v34, -v101
	v_fmamk_f32 v34, v71, 0xbf955555, v24
	v_fmamk_f32 v71, v72, 0xbf955555, v25
	v_fma_f32 v91, 0x3f3bfb3b, v73, -v91
	v_fma_f32 v73, 0xbf3bfb3b, v73, -v83
	;; [unrolled: 1-line block ×3, first 2 shown]
	v_fmac_f32_e32 v93, 0xbeae86e6, v97
	v_fma_f32 v84, 0x3f5ff5aa, v33, -v86
	v_fmac_f32_e32 v95, 0xbeae86e6, v28
	v_fma_f32 v28, 0x3f3bfb3b, v74, -v96
	v_fma_f32 v31, 0xbf3bfb3b, v74, -v85
	v_fmamk_f32 v85, v29, 0x3eae86e6, v101
	v_fmac_f32_e32 v105, 0xbeae86e6, v29
	v_fmamk_f32 v86, v103, 0x3eae86e6, v98
	v_fmamk_f32 v33, v77, 0x3d64c772, v76
	;; [unrolled: 1-line block ×5, first 2 shown]
	v_fma_f32 v77, 0x3f3bfb3b, v79, -v102
	v_fma_f32 v76, 0xbf3bfb3b, v79, -v76
	;; [unrolled: 1-line block ×3, first 2 shown]
	v_fmac_f32_e32 v104, 0xbeae86e6, v103
	v_fma_f32 v29, 0x3f3bfb3b, v80, -v106
	v_fma_f32 v32, 0xbf3bfb3b, v80, -v99
	v_fmac_f32_e32 v87, 0x3ee1c552, v81
	v_fmac_f32_e32 v88, 0x3ee1c552, v82
	v_add_f32_e32 v78, v89, v34
	v_add_f32_e32 v79, v90, v71
	v_fmac_f32_e32 v83, 0x3ee1c552, v81
	v_fmac_f32_e32 v93, 0x3ee1c552, v81
	;; [unrolled: 1-line block ×7, first 2 shown]
	v_add_f32_e32 v35, v91, v34
	v_add_f32_e32 v73, v73, v34
	;; [unrolled: 1-line block ×4, first 2 shown]
	v_fmac_f32_e32 v86, 0x3ee1c552, v30
	v_add_f32_e32 v89, v33, v72
	v_add_f32_e32 v90, v74, v75
	v_fmac_f32_e32 v92, 0x3ee1c552, v30
	v_fmac_f32_e32 v104, 0x3ee1c552, v30
	v_add_f32_e32 v81, v77, v72
	v_add_f32_e32 v91, v76, v72
	;; [unrolled: 1-line block ×5, first 2 shown]
	v_sub_f32_e32 v29, v79, v87
	v_add_f32_e32 v30, v95, v73
	v_sub_f32_e32 v31, v80, v93
	v_sub_f32_e32 v32, v35, v84
	v_add_f32_e32 v33, v83, v71
	v_add_f32_e32 v34, v84, v35
	v_sub_f32_e32 v35, v71, v83
	v_sub_f32_e32 v71, v73, v95
	v_add_f32_e32 v72, v93, v80
	v_sub_f32_e32 v73, v78, v88
	v_add_f32_e32 v74, v87, v79
	v_add_f32_e32 v75, v85, v89
	v_sub_f32_e32 v76, v90, v86
	v_add_f32_e32 v77, v105, v91
	v_sub_f32_e32 v78, v96, v104
	v_sub_f32_e32 v79, v81, v94
	v_add_f32_e32 v80, v92, v82
	v_add_f32_e32 v81, v94, v81
	v_sub_f32_e32 v82, v82, v92
	v_sub_f32_e32 v83, v91, v105
	v_add_f32_e32 v84, v104, v96
	v_sub_f32_e32 v85, v89, v85
	v_add_f32_e32 v86, v86, v90
	ds_write2_b64 v119, v[24:25], v[28:29] offset1:7
	ds_write2_b64 v119, v[30:31], v[32:33] offset0:14 offset1:21
	ds_write2_b64 v119, v[34:35], v[71:72] offset0:28 offset1:35
	ds_write_b64 v119, v[73:74] offset:336
	ds_write2_b64 v118, v[26:27], v[75:76] offset1:7
	ds_write2_b64 v118, v[77:78], v[79:80] offset0:14 offset1:21
	ds_write2_b64 v118, v[81:82], v[83:84] offset0:28 offset1:35
	ds_write_b64 v118, v[85:86] offset:336
	s_waitcnt lgkmcnt(0)
	s_barrier
	buffer_gl0_inv
	s_clause 0x2
	global_load_dwordx4 v[24:27], v[38:39], off offset:336
	global_load_dwordx4 v[28:31], v[38:39], off offset:352
	;; [unrolled: 1-line block ×3, first 2 shown]
	v_mul_i32_i24_e32 v79, 0xffffffd8, v115
	v_mul_hi_i32_i24_e32 v80, 0xffffffd8, v115
	ds_read2_b64 v[71:74], v111 offset0:98 offset1:147
	ds_read2_b64 v[75:78], v111 offset0:196 offset1:245
	v_add_co_u32 v99, vcc_lo, v38, v79
	v_add_co_ci_u32_e32 v100, vcc_lo, v39, v80, vcc_lo
	ds_read2_b64 v[79:82], v114 offset0:38 offset1:87
	ds_read2_b64 v[83:86], v114 offset0:136 offset1:185
	;; [unrolled: 1-line block ×4, first 2 shown]
	ds_read2_b64 v[95:98], v111 offset1:49
	v_add_co_u32 v38, vcc_lo, 0x800, v99
	v_add_co_ci_u32_e32 v39, vcc_lo, 0, v100, vcc_lo
	s_waitcnt vmcnt(0) lgkmcnt(0)
	s_barrier
	buffer_gl0_inv
	v_mul_f32_e32 v101, v72, v25
	v_mul_f32_e32 v102, v71, v25
	;; [unrolled: 1-line block ×24, first 2 shown]
	v_fma_f32 v71, v71, v24, -v101
	v_fmac_f32_e32 v102, v72, v24
	v_fma_f32 v72, v73, v24, -v103
	v_fmac_f32_e32 v104, v74, v24
	;; [unrolled: 2-line block ×8, first 2 shown]
	v_fma_f32 v80, v89, v32, -v128
	v_fma_f32 v81, v91, v34, -v130
	v_fmac_f32_e32 v129, v90, v32
	v_fmac_f32_e32 v131, v92, v34
	v_fma_f32 v82, v93, v34, -v132
	v_fmac_f32_e32 v133, v94, v34
	v_fma_f32 v78, v85, v30, -v124
	v_fmac_f32_e32 v125, v86, v30
	v_add_f32_e32 v83, v71, v81
	v_add_f32_e32 v84, v73, v79
	;; [unrolled: 1-line block ×7, first 2 shown]
	v_sub_f32_e32 v91, v102, v131
	v_add_f32_e32 v92, v104, v133
	v_sub_f32_e32 v73, v73, v79
	v_add_f32_e32 v79, v108, v129
	v_sub_f32_e32 v93, v106, v127
	v_sub_f32_e32 v75, v77, v75
	;; [unrolled: 1-line block ×3, first 2 shown]
	v_add_f32_e32 v88, v110, v123
	v_sub_f32_e32 v71, v71, v81
	v_add_f32_e32 v81, v76, v78
	v_add_f32_e32 v94, v121, v125
	v_sub_f32_e32 v72, v72, v82
	v_sub_f32_e32 v82, v104, v133
	;; [unrolled: 1-line block ×6, first 2 shown]
	v_add_f32_e32 v101, v84, v83
	v_add_f32_e32 v102, v87, v86
	;; [unrolled: 1-line block ×4, first 2 shown]
	v_sub_f32_e32 v105, v83, v85
	v_sub_f32_e32 v106, v85, v84
	v_add_f32_e32 v109, v75, v73
	v_sub_f32_e32 v110, v75, v73
	v_sub_f32_e32 v83, v84, v83
	v_add_f32_e32 v84, v77, v93
	v_sub_f32_e32 v121, v77, v93
	v_sub_f32_e32 v93, v93, v91
	;; [unrolled: 1-line block ×13, first 2 shown]
	v_add_f32_e32 v73, v76, v74
	v_sub_f32_e32 v123, v76, v74
	v_sub_f32_e32 v124, v74, v72
	v_sub_f32_e32 v125, v78, v80
	v_add_f32_e32 v85, v85, v101
	v_add_f32_e32 v88, v88, v102
	;; [unrolled: 1-line block ×5, first 2 shown]
	v_mul_f32_e32 v102, 0x3f4a47b2, v105
	v_mul_f32_e32 v103, 0x3d64c772, v106
	;; [unrolled: 1-line block ×5, first 2 shown]
	v_add_f32_e32 v74, v78, v80
	v_sub_f32_e32 v80, v80, v82
	v_sub_f32_e32 v75, v71, v75
	;; [unrolled: 1-line block ×3, first 2 shown]
	v_add_f32_e32 v84, v84, v91
	v_add_f32_e32 v91, v73, v72
	v_mul_f32_e32 v105, 0xbf5ff5aa, v122
	v_mul_f32_e32 v107, 0x3f4a47b2, v107
	;; [unrolled: 1-line block ×6, first 2 shown]
	v_add_f32_e32 v71, v95, v85
	v_add_f32_e32 v72, v96, v88
	v_fmamk_f32 v95, v106, 0x3d64c772, v102
	v_fma_f32 v96, 0x3f3bfb3b, v83, -v103
	v_fma_f32 v83, 0xbf3bfb3b, v83, -v102
	;; [unrolled: 1-line block ×3, first 2 shown]
	v_fmamk_f32 v102, v77, 0x3eae86e6, v109
	v_fmac_f32_e32 v110, 0xbeae86e6, v77
	v_sub_f32_e32 v78, v82, v78
	v_mul_f32_e32 v128, 0xbf5ff5aa, v80
	v_add_f32_e32 v82, v74, v82
	v_mul_f32_e32 v89, 0x3f4a47b2, v89
	v_mul_f32_e32 v126, 0x3d64c772, v90
	;; [unrolled: 1-line block ×4, first 2 shown]
	v_add_f32_e32 v73, v97, v81
	v_add_f32_e32 v74, v98, v94
	v_fma_f32 v97, 0x3f5ff5aa, v122, -v104
	v_fmamk_f32 v98, v75, 0x3eae86e6, v104
	v_fmac_f32_e32 v105, 0xbeae86e6, v75
	v_fmamk_f32 v75, v108, 0x3d64c772, v107
	v_fma_f32 v77, 0x3f3bfb3b, v86, -v121
	v_fma_f32 v86, 0xbf3bfb3b, v86, -v107
	v_fmac_f32_e32 v127, 0xbeae86e6, v76
	v_fmamk_f32 v103, v76, 0x3eae86e6, v123
	v_fma_f32 v104, 0x3f5ff5aa, v124, -v123
	v_fma_f32 v107, 0x3f5ff5aa, v80, -v125
	v_fmac_f32_e32 v102, 0x3ee1c552, v84
	v_fmac_f32_e32 v93, 0x3ee1c552, v84
	;; [unrolled: 1-line block ×3, first 2 shown]
	v_fmamk_f32 v80, v85, 0xbf955555, v71
	v_fmamk_f32 v84, v88, 0xbf955555, v72
	v_fmac_f32_e32 v128, 0xbeae86e6, v78
	v_fmamk_f32 v106, v78, 0x3eae86e6, v125
	v_fmamk_f32 v90, v90, 0x3d64c772, v89
	v_fma_f32 v89, 0xbf3bfb3b, v87, -v89
	v_fma_f32 v87, 0x3f3bfb3b, v87, -v126
	v_fmamk_f32 v76, v79, 0x3d64c772, v92
	v_fma_f32 v78, 0xbf3bfb3b, v120, -v92
	v_fma_f32 v79, 0x3f3bfb3b, v120, -v129
	v_fmamk_f32 v81, v81, 0xbf955555, v73
	v_fmamk_f32 v85, v94, 0xbf955555, v74
	v_fmac_f32_e32 v98, 0x3ee1c552, v101
	v_fmac_f32_e32 v103, 0x3ee1c552, v91
	;; [unrolled: 1-line block ×4, first 2 shown]
	v_add_f32_e32 v88, v95, v80
	v_add_f32_e32 v91, v75, v84
	v_fmac_f32_e32 v97, 0x3ee1c552, v101
	v_fmac_f32_e32 v105, 0x3ee1c552, v101
	;; [unrolled: 1-line block ×5, first 2 shown]
	v_add_f32_e32 v82, v96, v80
	v_add_f32_e32 v83, v83, v80
	;; [unrolled: 1-line block ×11, first 2 shown]
	v_sub_f32_e32 v76, v91, v98
	v_sub_f32_e32 v77, v82, v93
	v_add_f32_e32 v78, v97, v80
	v_add_f32_e32 v79, v93, v82
	;; [unrolled: 1-line block ×3, first 2 shown]
	v_sub_f32_e32 v82, v86, v105
	v_sub_f32_e32 v80, v80, v97
	;; [unrolled: 1-line block ×3, first 2 shown]
	v_add_f32_e32 v84, v105, v86
	v_sub_f32_e32 v85, v88, v102
	v_add_f32_e32 v86, v98, v91
	v_add_f32_e32 v87, v106, v101
	v_sub_f32_e32 v88, v108, v103
	v_sub_f32_e32 v89, v92, v107
	v_add_f32_e32 v90, v104, v94
	v_add_f32_e32 v91, v107, v92
	v_sub_f32_e32 v92, v94, v104
	v_add_f32_e32 v93, v128, v95
	v_sub_f32_e32 v94, v96, v127
	v_sub_f32_e32 v95, v95, v128
	v_add_f32_e32 v96, v127, v96
	v_sub_f32_e32 v97, v101, v106
	v_add_f32_e32 v98, v103, v108
	ds_write2_b64 v111, v[71:72], v[75:76] offset1:49
	ds_write2_b64 v111, v[81:82], v[77:78] offset0:98 offset1:147
	ds_write2_b64 v111, v[79:80], v[83:84] offset0:196 offset1:245
	;; [unrolled: 1-line block ×6, first 2 shown]
	v_add_co_u32 v81, vcc_lo, 0x1000, v99
	v_add_co_ci_u32_e32 v82, vcc_lo, 0, v100, vcc_lo
	s_waitcnt lgkmcnt(0)
	s_barrier
	buffer_gl0_inv
	s_clause 0x6
	global_load_dwordx2 v[71:72], v[38:39], off offset:1032
	global_load_dwordx2 v[75:76], v[38:39], off offset:1424
	;; [unrolled: 1-line block ×7, first 2 shown]
	ds_read2_b64 v[85:88], v114 offset0:136 offset1:185
	ds_read2_b64 v[89:92], v113 offset0:106 offset1:155
	;; [unrolled: 1-line block ×4, first 2 shown]
	ds_read2_b64 v[101:104], v111 offset1:49
	ds_read2_b64 v[105:108], v111 offset0:98 offset1:147
	ds_read2_b64 v[120:123], v111 offset0:196 offset1:245
	s_waitcnt vmcnt(5) lgkmcnt(6)
	v_mul_f32_e32 v39, v88, v76
	v_mul_f32_e32 v110, v87, v76
	s_waitcnt vmcnt(4) lgkmcnt(5)
	v_mul_f32_e32 v124, v90, v74
	v_mul_f32_e32 v125, v89, v74
	;; [unrolled: 1-line block ×4, first 2 shown]
	s_waitcnt vmcnt(0) lgkmcnt(3)
	v_mul_f32_e32 v132, v100, v84
	v_mul_f32_e32 v133, v99, v84
	;; [unrolled: 1-line block ×8, first 2 shown]
	v_fma_f32 v85, v85, v71, -v38
	v_fmac_f32_e32 v109, v86, v71
	v_fma_f32 v38, v99, v83, -v132
	v_fmac_f32_e32 v133, v100, v83
	v_fma_f32 v87, v87, v75, -v39
	v_fmac_f32_e32 v110, v88, v75
	v_fma_f32 v89, v89, v73, -v124
	v_fmac_f32_e32 v125, v90, v73
	v_fma_f32 v91, v91, v77, -v126
	v_fmac_f32_e32 v127, v92, v77
	v_fma_f32 v93, v93, v79, -v128
	v_fmac_f32_e32 v129, v94, v79
	v_fma_f32 v95, v95, v81, -v130
	v_fmac_f32_e32 v131, v96, v81
	s_waitcnt lgkmcnt(2)
	v_sub_f32_e32 v38, v101, v38
	v_sub_f32_e32 v39, v102, v133
	v_sub_f32_e32 v85, v103, v85
	v_sub_f32_e32 v86, v104, v109
	s_waitcnt lgkmcnt(1)
	v_sub_f32_e32 v87, v105, v87
	v_sub_f32_e32 v88, v106, v110
	v_sub_f32_e32 v89, v107, v89
	v_sub_f32_e32 v90, v108, v125
	;; [unrolled: 5-line block ×3, first 2 shown]
	v_sub_f32_e32 v95, v97, v95
	v_sub_f32_e32 v96, v98, v131
	v_fma_f32 v99, v101, 2.0, -v38
	v_fma_f32 v100, v102, 2.0, -v39
	v_fma_f32 v101, v103, 2.0, -v85
	v_fma_f32 v102, v104, 2.0, -v86
	v_fma_f32 v103, v105, 2.0, -v87
	v_fma_f32 v104, v106, 2.0, -v88
	v_fma_f32 v105, v107, 2.0, -v89
	v_fma_f32 v106, v108, 2.0, -v90
	v_fma_f32 v107, v120, 2.0, -v91
	v_fma_f32 v108, v121, 2.0, -v92
	v_fma_f32 v109, v122, 2.0, -v93
	v_fma_f32 v110, v123, 2.0, -v94
	v_fma_f32 v97, v97, 2.0, -v95
	v_fma_f32 v98, v98, 2.0, -v96
	ds_write_b64 v111, v[38:39] offset:2744
	ds_write2_b64 v111, v[99:100], v[101:102] offset1:49
	ds_write2_b64 v114, v[85:86], v[87:88] offset0:136 offset1:185
	ds_write2_b64 v111, v[103:104], v[105:106] offset0:98 offset1:147
	ds_write2_b64 v113, v[89:90], v[91:92] offset0:106 offset1:155
	ds_write2_b64 v111, v[107:108], v[109:110] offset0:196 offset1:245
	ds_write2_b64 v112, v[93:94], v[95:96] offset0:76 offset1:125
	ds_write_b64 v111, v[97:98] offset:2352
	s_waitcnt lgkmcnt(0)
	s_barrier
	buffer_gl0_inv
	global_load_dwordx2 v[36:37], v[36:37], off offset:1392
	v_add_co_u32 v38, vcc_lo, 0x1570, v40
	v_add_co_ci_u32_e32 v39, vcc_lo, 0, v41, vcc_lo
	s_clause 0x4
	global_load_dwordx2 v[85:86], v[38:39], off offset:392
	global_load_dwordx2 v[89:90], v[38:39], off offset:784
	;; [unrolled: 1-line block ×5, first 2 shown]
	v_add_co_u32 v38, vcc_lo, 0x1800, v40
	v_add_co_ci_u32_e32 v39, vcc_lo, 0, v41, vcc_lo
	v_add_co_u32 v107, vcc_lo, 0x2000, v40
	v_add_co_ci_u32_e32 v108, vcc_lo, 0, v41, vcc_lo
	s_clause 0x5
	global_load_dwordx2 v[97:98], v[38:39], off offset:1696
	global_load_dwordx2 v[95:96], v[107:108], off offset:40
	global_load_dwordx2 v[99:100], v[107:108], off offset:432
	global_load_dwordx2 v[101:102], v[107:108], off offset:824
	global_load_dwordx2 v[103:104], v[107:108], off offset:1216
	global_load_dwordx2 v[105:106], v[107:108], off offset:1608
	v_add_co_u32 v38, vcc_lo, 0x2800, v40
	v_add_co_ci_u32_e32 v39, vcc_lo, 0, v41, vcc_lo
	s_clause 0x1
	global_load_dwordx2 v[109:110], v[107:108], off offset:2000
	global_load_dwordx2 v[107:108], v[38:39], off offset:344
	ds_read2_b64 v[38:41], v111 offset1:49
	v_mad_u64_u32 v[128:129], null, s2, v70, 0
	v_mad_u64_u32 v[132:133], null, s0, v115, 0
	s_mul_i32 s2, s0, 0x310
	s_waitcnt vmcnt(13) lgkmcnt(0)
	v_mul_f32_e32 v120, v39, v37
	v_mul_f32_e32 v121, v38, v37
	s_waitcnt vmcnt(12)
	v_mul_f32_e32 v124, v41, v86
	v_fma_f32 v120, v38, v36, -v120
	v_fmac_f32_e32 v121, v39, v36
	v_mul_f32_e32 v131, v40, v86
	v_mov_b32_e32 v86, v129
	v_fma_f32 v130, v40, v85, -v124
	ds_write_b64 v111, v[120:121]
	ds_read2_b64 v[36:39], v111 offset0:98 offset1:147
	ds_read2_b64 v[120:123], v111 offset0:196 offset1:245
	v_fmac_f32_e32 v131, v41, v85
	ds_read2_b64 v[124:127], v114 offset0:38 offset1:87
	s_waitcnt vmcnt(10)
	v_mad_u64_u32 v[137:138], null, s3, v70, v[86:87]
	s_mul_i32 s3, s1, 0x310
	s_add_i32 s3, s6, s3
	v_mov_b32_e32 v129, v137
	s_waitcnt lgkmcnt(2)
	v_mul_f32_e32 v40, v37, v90
	v_mul_f32_e32 v41, v36, v90
	;; [unrolled: 1-line block ×4, first 2 shown]
	v_mov_b32_e32 v90, v133
	v_fma_f32 v40, v36, v89, -v40
	v_fmac_f32_e32 v41, v37, v89
	v_fma_f32 v133, v38, v87, -v85
	v_fmac_f32_e32 v134, v39, v87
	ds_read2_b64 v[36:39], v114 offset0:136 offset1:185
	s_waitcnt vmcnt(9) lgkmcnt(2)
	v_mul_f32_e32 v89, v121, v92
	v_mul_f32_e32 v136, v120, v92
	ds_read2_b64 v[85:88], v113 offset0:106 offset1:155
	v_mad_u64_u32 v[138:139], null, s1, v115, v[90:91]
	v_fma_f32 v135, v120, v91, -v89
	v_fmac_f32_e32 v136, v121, v91
	ds_read2_b64 v[89:92], v112 offset0:76 offset1:125
	s_waitcnt vmcnt(8)
	v_mul_f32_e32 v70, v123, v94
	v_mul_f32_e32 v121, v122, v94
	s_waitcnt vmcnt(7) lgkmcnt(3)
	v_mul_f32_e32 v94, v124, v98
	v_add_nc_u32_e32 v115, 0x400, v111
	s_mulk_i32 s1, 0xef28
	v_fma_f32 v120, v122, v93, -v70
	v_mul_f32_e32 v70, v125, v98
	s_waitcnt vmcnt(6)
	v_mul_f32_e32 v122, v127, v96
	v_fmac_f32_e32 v121, v123, v93
	v_mul_f32_e32 v98, v126, v96
	v_fmac_f32_e32 v94, v125, v97
	v_fma_f32 v93, v124, v97, -v70
	s_waitcnt vmcnt(5) lgkmcnt(2)
	v_mul_f32_e32 v70, v37, v100
	v_fma_f32 v97, v126, v95, -v122
	v_mul_f32_e32 v96, v36, v100
	s_waitcnt vmcnt(4)
	v_mul_f32_e32 v122, v39, v102
	v_mul_f32_e32 v100, v38, v102
	v_fmac_f32_e32 v98, v127, v95
	s_waitcnt vmcnt(3) lgkmcnt(1)
	v_mul_f32_e32 v123, v86, v104
	v_mul_f32_e32 v102, v85, v104
	v_fma_f32 v95, v36, v99, -v70
	s_waitcnt vmcnt(2)
	v_mul_f32_e32 v36, v88, v106
	v_fmac_f32_e32 v96, v37, v99
	v_mul_f32_e32 v37, v87, v106
	v_fma_f32 v99, v38, v101, -v122
	s_waitcnt vmcnt(1) lgkmcnt(0)
	v_mul_f32_e32 v38, v90, v110
	v_fmac_f32_e32 v100, v39, v101
	v_mul_f32_e32 v39, v89, v110
	s_waitcnt vmcnt(0)
	v_mul_f32_e32 v70, v92, v108
	v_mul_f32_e32 v104, v91, v108
	v_fma_f32 v101, v85, v103, -v123
	v_fmac_f32_e32 v102, v86, v103
	v_fma_f32 v36, v87, v105, -v36
	v_fmac_f32_e32 v37, v88, v105
	;; [unrolled: 2-line block ×4, first 2 shown]
	ds_write2_b64 v115, v[120:121], v[93:94] offset0:117 offset1:166
	ds_write2_b64 v111, v[130:131], v[40:41] offset0:49 offset1:98
	;; [unrolled: 1-line block ×6, first 2 shown]
	ds_write_b64 v111, v[103:104] offset:5096
	s_waitcnt lgkmcnt(0)
	s_barrier
	buffer_gl0_inv
	ds_read2_b64 v[36:39], v111 offset0:98 offset1:147
	ds_read2_b64 v[85:88], v112 offset0:76 offset1:125
	;; [unrolled: 1-line block ×6, first 2 shown]
	ds_read2_b64 v[105:108], v111 offset1:49
	v_lshlrev_b64 v[40:41], 3, v[128:129]
	v_mov_b32_e32 v133, v138
	s_waitcnt lgkmcnt(0)
	s_barrier
	buffer_gl0_inv
	v_add_co_u32 v70, vcc_lo, s4, v40
	v_add_co_ci_u32_e32 v115, vcc_lo, s5, v41, vcc_lo
	v_lshlrev_b64 v[109:110], 3, v[132:133]
	s_sub_i32 s4, s1, s0
	v_add_f32_e32 v40, v36, v85
	v_add_f32_e32 v41, v37, v86
	v_sub_f32_e32 v36, v36, v85
	v_sub_f32_e32 v37, v37, v86
	v_add_f32_e32 v85, v38, v87
	v_add_f32_e32 v86, v39, v88
	v_sub_f32_e32 v38, v38, v87
	v_sub_f32_e32 v39, v39, v88
	;; [unrolled: 4-line block ×6, first 2 shown]
	v_add_f32_e32 v103, v87, v40
	v_add_f32_e32 v104, v88, v41
	;; [unrolled: 1-line block ×4, first 2 shown]
	v_sub_f32_e32 v122, v40, v95
	v_sub_f32_e32 v123, v95, v87
	;; [unrolled: 1-line block ×4, first 2 shown]
	v_add_f32_e32 v126, v97, v89
	v_sub_f32_e32 v127, v97, v89
	v_add_f32_e32 v128, v98, v90
	v_sub_f32_e32 v129, v98, v90
	v_sub_f32_e32 v40, v87, v40
	;; [unrolled: 1-line block ×11, first 2 shown]
	v_add_f32_e32 v94, v99, v91
	v_sub_f32_e32 v131, v99, v91
	v_sub_f32_e32 v91, v91, v38
	;; [unrolled: 1-line block ×3, first 2 shown]
	v_add_f32_e32 v95, v95, v103
	v_add_f32_e32 v96, v96, v104
	v_sub_f32_e32 v97, v36, v97
	v_sub_f32_e32 v98, v37, v98
	;; [unrolled: 1-line block ×3, first 2 shown]
	v_add_f32_e32 v132, v100, v92
	v_sub_f32_e32 v92, v92, v39
	v_add_f32_e32 v101, v101, v120
	v_add_f32_e32 v102, v102, v121
	;; [unrolled: 1-line block ×3, first 2 shown]
	v_mul_f32_e32 v120, 0x3f4a47b2, v122
	v_mul_f32_e32 v121, 0x3f08b237, v127
	;; [unrolled: 1-line block ×8, first 2 shown]
	v_add_f32_e32 v104, v128, v37
	v_mul_f32_e32 v128, 0x3f5ff5aa, v87
	v_mul_f32_e32 v89, 0x3f4a47b2, v89
	;; [unrolled: 1-line block ×6, first 2 shown]
	v_add_f32_e32 v36, v105, v95
	v_add_f32_e32 v37, v106, v96
	v_mul_f32_e32 v127, 0x3d64c772, v125
	v_sub_f32_e32 v100, v39, v100
	v_add_f32_e32 v94, v94, v38
	v_add_f32_e32 v132, v132, v39
	v_mul_f32_e32 v136, 0x3f5ff5aa, v92
	v_add_f32_e32 v38, v107, v101
	v_add_f32_e32 v39, v108, v102
	v_fmamk_f32 v105, v97, 0xbeae86e6, v121
	v_fmamk_f32 v106, v98, 0xbeae86e6, v124
	;; [unrolled: 1-line block ×3, first 2 shown]
	v_fma_f32 v121, 0xbf5ff5aa, v87, -v121
	v_fma_f32 v87, 0xbf5ff5aa, v88, -v124
	;; [unrolled: 1-line block ×3, first 2 shown]
	v_fmac_f32_e32 v129, 0x3eae86e6, v98
	v_fma_f32 v40, 0xbf3bfb3b, v40, -v120
	v_fma_f32 v98, 0xbf5ff5aa, v91, -v131
	v_fmamk_f32 v120, v99, 0xbeae86e6, v131
	v_fmac_f32_e32 v135, 0x3eae86e6, v99
	v_fmamk_f32 v108, v125, 0x3d64c772, v122
	v_fmac_f32_e32 v128, 0x3eae86e6, v97
	v_fmamk_f32 v90, v90, 0x3d64c772, v89
	v_fma_f32 v97, 0x3f3bfb3b, v85, -v134
	v_fma_f32 v85, 0xbf3bfb3b, v85, -v89
	;; [unrolled: 1-line block ×3, first 2 shown]
	v_fmamk_f32 v89, v130, 0x3d64c772, v93
	v_fma_f32 v91, 0x3f3bfb3b, v86, -v137
	v_fma_f32 v86, 0xbf3bfb3b, v86, -v93
	v_fmamk_f32 v92, v95, 0xbf955555, v36
	v_fmamk_f32 v93, v96, 0xbf955555, v37
	v_fma_f32 v123, 0x3f3bfb3b, v41, -v127
	v_fma_f32 v41, 0xbf3bfb3b, v41, -v122
	v_fmamk_f32 v122, v100, 0xbeae86e6, v133
	v_fmac_f32_e32 v136, 0x3eae86e6, v100
	v_fmac_f32_e32 v120, 0xbee1c552, v94
	;; [unrolled: 1-line block ×4, first 2 shown]
	v_fmamk_f32 v94, v101, 0xbf955555, v38
	v_fmamk_f32 v95, v102, 0xbf955555, v39
	v_fmac_f32_e32 v105, 0xbee1c552, v103
	v_fmac_f32_e32 v106, 0xbee1c552, v104
	v_add_f32_e32 v96, v107, v92
	v_add_f32_e32 v100, v108, v93
	v_fmac_f32_e32 v121, 0xbee1c552, v103
	v_fmac_f32_e32 v87, 0xbee1c552, v104
	;; [unrolled: 1-line block ×4, first 2 shown]
	v_add_f32_e32 v88, v88, v92
	v_add_f32_e32 v101, v123, v93
	;; [unrolled: 1-line block ×4, first 2 shown]
	v_fmac_f32_e32 v122, 0xbee1c552, v132
	v_fmac_f32_e32 v99, 0xbee1c552, v132
	v_fmac_f32_e32 v136, 0xbee1c552, v132
	v_add_f32_e32 v107, v90, v94
	v_add_f32_e32 v97, v97, v94
	;; [unrolled: 1-line block ×7, first 2 shown]
	v_sub_f32_e32 v41, v100, v105
	v_sub_f32_e32 v85, v88, v87
	v_add_f32_e32 v86, v121, v101
	v_add_f32_e32 v89, v129, v92
	v_sub_f32_e32 v90, v93, v128
	v_add_f32_e32 v87, v87, v88
	v_sub_f32_e32 v88, v101, v121
	v_sub_f32_e32 v91, v92, v129
	v_add_f32_e32 v92, v128, v93
	v_sub_f32_e32 v93, v96, v106
	v_add_f32_e32 v94, v105, v100
	;; [unrolled: 2-line block ×3, first 2 shown]
	v_add_f32_e32 v97, v99, v97
	v_sub_f32_e32 v98, v104, v98
	v_add_f32_e32 v99, v136, v102
	v_sub_f32_e32 v100, v103, v135
	v_sub_f32_e32 v101, v102, v136
	v_add_f32_e32 v102, v135, v103
	v_add_f32_e32 v103, v107, v122
	v_sub_f32_e32 v104, v108, v120
	v_sub_f32_e32 v105, v107, v122
	v_add_f32_e32 v106, v120, v108
	ds_write2_b64 v116, v[36:37], v[40:41] offset1:1
	ds_write2_b64 v116, v[89:90], v[85:86] offset0:2 offset1:3
	ds_write2_b64 v116, v[87:88], v[91:92] offset0:4 offset1:5
	ds_write_b64 v116, v[93:94] offset:48
	ds_write2_b64 v117, v[38:39], v[103:104] offset1:1
	ds_write2_b64 v117, v[99:100], v[95:96] offset0:2 offset1:3
	ds_write2_b64 v117, v[97:98], v[101:102] offset0:4 offset1:5
	ds_write_b64 v117, v[105:106] offset:48
	s_waitcnt lgkmcnt(0)
	s_barrier
	buffer_gl0_inv
	ds_read2_b64 v[85:88], v111 offset0:98 offset1:147
	ds_read2_b64 v[89:92], v111 offset0:196 offset1:245
	;; [unrolled: 1-line block ×6, first 2 shown]
	ds_read2_b64 v[120:123], v111 offset1:49
	v_add_co_u32 v36, vcc_lo, v70, v109
	v_add_co_ci_u32_e32 v37, vcc_lo, v115, v110, vcc_lo
	s_waitcnt lgkmcnt(0)
	s_barrier
	buffer_gl0_inv
	v_add_co_u32 v38, vcc_lo, v36, s2
	v_add_co_ci_u32_e32 v39, vcc_lo, s3, v37, vcc_lo
	v_add_co_u32 v40, vcc_lo, v38, s2
	v_add_co_ci_u32_e32 v41, vcc_lo, s3, v39, vcc_lo
	v_mul_f32_e32 v70, v9, v86
	v_mul_f32_e32 v9, v9, v85
	v_mul_f32_e32 v109, v11, v90
	v_mul_f32_e32 v11, v11, v89
	v_mul_f32_e32 v110, v5, v88
	v_mul_f32_e32 v5, v5, v87
	v_mul_f32_e32 v115, v7, v92
	v_mul_f32_e32 v7, v7, v91
	v_mul_f32_e32 v126, v17, v102
	v_mul_f32_e32 v17, v17, v101
	v_mul_f32_e32 v127, v19, v106
	v_mul_f32_e32 v19, v19, v105
	v_mul_f32_e32 v116, v1, v94
	v_mul_f32_e32 v1, v1, v93
	v_mul_f32_e32 v117, v3, v98
	v_mul_f32_e32 v3, v3, v97
	v_mul_f32_e32 v124, v13, v96
	v_mul_f32_e32 v13, v13, v95
	v_mul_f32_e32 v128, v21, v104
	v_mul_f32_e32 v21, v21, v103
	v_fmac_f32_e32 v70, v8, v85
	v_fma_f32 v8, v8, v86, -v9
	v_fmac_f32_e32 v109, v10, v89
	v_fma_f32 v9, v10, v90, -v11
	v_mul_f32_e32 v10, v23, v108
	v_mul_f32_e32 v11, v23, v107
	;; [unrolled: 1-line block ×4, first 2 shown]
	v_fmac_f32_e32 v110, v4, v87
	v_fma_f32 v4, v4, v88, -v5
	v_fmac_f32_e32 v115, v6, v91
	v_fma_f32 v5, v6, v92, -v7
	;; [unrolled: 2-line block ×10, first 2 shown]
	v_add_f32_e32 v13, v70, v127
	v_add_f32_e32 v14, v109, v126
	;; [unrolled: 1-line block ×10, first 2 shown]
	v_sub_f32_e32 v7, v8, v7
	v_sub_f32_e32 v8, v109, v126
	;; [unrolled: 1-line block ×5, first 2 shown]
	v_add_f32_e32 v85, v2, v3
	v_sub_f32_e32 v1, v110, v10
	v_sub_f32_e32 v4, v4, v11
	;; [unrolled: 1-line block ×6, first 2 shown]
	v_add_f32_e32 v3, v14, v13
	v_add_f32_e32 v12, v17, v16
	v_sub_f32_e32 v70, v70, v127
	v_add_f32_e32 v21, v124, v125
	v_add_f32_e32 v86, v20, v19
	;; [unrolled: 1-line block ×3, first 2 shown]
	v_sub_f32_e32 v88, v13, v15
	v_sub_f32_e32 v89, v15, v14
	;; [unrolled: 1-line block ×4, first 2 shown]
	v_add_f32_e32 v94, v0, v6
	v_sub_f32_e32 v95, v0, v6
	v_sub_f32_e32 v6, v6, v7
	;; [unrolled: 1-line block ×3, first 2 shown]
	v_add_f32_e32 v0, v11, v10
	v_add_f32_e32 v15, v15, v3
	;; [unrolled: 1-line block ×3, first 2 shown]
	v_sub_f32_e32 v91, v18, v17
	v_add_f32_e32 v92, v9, v8
	v_sub_f32_e32 v8, v8, v70
	v_sub_f32_e32 v9, v70, v9
	;; [unrolled: 1-line block ×10, first 2 shown]
	v_add_f32_e32 v98, v2, v5
	v_sub_f32_e32 v99, v2, v5
	v_sub_f32_e32 v19, v19, v21
	;; [unrolled: 1-line block ×3, first 2 shown]
	v_add_f32_e32 v18, v21, v86
	v_add_f32_e32 v21, v85, v87
	v_mul_f32_e32 v85, 0x3f4a47b2, v88
	v_mul_f32_e32 v86, 0x3f08b237, v93
	;; [unrolled: 1-line block ×6, first 2 shown]
	v_sub_f32_e32 v5, v5, v4
	v_sub_f32_e32 v11, v1, v11
	v_add_f32_e32 v95, v0, v1
	v_add_f32_e32 v0, v120, v15
	;; [unrolled: 1-line block ×5, first 2 shown]
	v_mul_f32_e32 v92, 0x3f5ff5aa, v8
	v_mul_f32_e32 v94, 0x3d64c772, v91
	v_sub_f32_e32 v100, v4, v2
	v_add_f32_e32 v4, v98, v4
	v_mul_f32_e32 v97, 0x3f08b237, v97
	v_mul_f32_e32 v98, 0x3f08b237, v99
	;; [unrolled: 1-line block ×6, first 2 shown]
	v_add_f32_e32 v2, v122, v18
	v_add_f32_e32 v3, v123, v21
	v_fmamk_f32 v104, v9, 0xbeae86e6, v86
	v_fmamk_f32 v105, v96, 0xbeae86e6, v88
	;; [unrolled: 1-line block ×3, first 2 shown]
	v_fma_f32 v90, 0x3f3bfb3b, v13, -v90
	v_fma_f32 v13, 0xbf3bfb3b, v13, -v85
	;; [unrolled: 1-line block ×4, first 2 shown]
	v_fmac_f32_e32 v93, 0x3eae86e6, v96
	v_mul_f32_e32 v101, 0x3d64c772, v23
	v_mul_f32_e32 v103, 0x3f5ff5aa, v5
	v_fmamk_f32 v91, v91, 0x3d64c772, v87
	v_fmamk_f32 v15, v15, 0xbf955555, v0
	;; [unrolled: 1-line block ×3, first 2 shown]
	v_fmac_f32_e32 v92, 0x3eae86e6, v9
	v_fma_f32 v6, 0x3f3bfb3b, v14, -v94
	v_fma_f32 v8, 0xbf3bfb3b, v14, -v87
	;; [unrolled: 1-line block ×4, first 2 shown]
	v_fmac_f32_e32 v102, 0x3eae86e6, v11
	v_fma_f32 v5, 0xbf3bfb3b, v16, -v19
	v_fmamk_f32 v94, v11, 0xbeae86e6, v97
	v_fmamk_f32 v96, v100, 0xbeae86e6, v98
	;; [unrolled: 1-line block ×4, first 2 shown]
	v_fmac_f32_e32 v105, 0xbee1c552, v7
	v_fmac_f32_e32 v86, 0xbee1c552, v7
	;; [unrolled: 1-line block ×3, first 2 shown]
	v_fmamk_f32 v7, v18, 0xbf955555, v2
	v_fmamk_f32 v17, v21, 0xbf955555, v3
	v_fma_f32 v14, 0x3f3bfb3b, v20, -v101
	v_fma_f32 v87, 0xbf5ff5aa, v10, -v97
	v_fmac_f32_e32 v103, 0x3eae86e6, v100
	v_fma_f32 v10, 0xbf3bfb3b, v20, -v22
	v_fmac_f32_e32 v104, 0xbee1c552, v70
	v_add_f32_e32 v18, v89, v15
	v_add_f32_e32 v19, v91, v12
	v_fmac_f32_e32 v85, 0xbee1c552, v70
	v_fmac_f32_e32 v92, 0xbee1c552, v70
	v_add_f32_e32 v20, v90, v15
	v_add_f32_e32 v13, v13, v15
	;; [unrolled: 1-line block ×4, first 2 shown]
	v_fmac_f32_e32 v94, 0xbee1c552, v95
	v_fmac_f32_e32 v96, 0xbee1c552, v4
	v_add_f32_e32 v89, v11, v7
	v_add_f32_e32 v90, v16, v17
	v_fmac_f32_e32 v87, 0xbee1c552, v95
	v_fmac_f32_e32 v88, 0xbee1c552, v4
	;; [unrolled: 1-line block ×4, first 2 shown]
	v_add_f32_e32 v21, v9, v7
	v_add_f32_e32 v22, v14, v17
	;; [unrolled: 1-line block ×5, first 2 shown]
	v_sub_f32_e32 v5, v19, v104
	v_add_f32_e32 v6, v93, v13
	v_sub_f32_e32 v7, v15, v92
	v_sub_f32_e32 v8, v20, v86
	v_add_f32_e32 v9, v85, v12
	v_add_f32_e32 v10, v86, v20
	v_sub_f32_e32 v11, v12, v85
	v_sub_f32_e32 v12, v13, v93
	v_add_f32_e32 v13, v92, v15
	v_sub_f32_e32 v14, v18, v105
	v_add_f32_e32 v15, v104, v19
	v_add_f32_e32 v85, v96, v89
	v_sub_f32_e32 v86, v90, v94
	v_sub_f32_e32 v16, v21, v88
	v_add_f32_e32 v17, v87, v22
	v_add_f32_e32 v18, v88, v21
	v_sub_f32_e32 v19, v22, v87
	v_add_f32_e32 v20, v103, v23
	v_sub_f32_e32 v21, v70, v102
	v_sub_f32_e32 v22, v23, v103
	v_add_f32_e32 v23, v102, v70
	v_sub_f32_e32 v87, v89, v96
	v_add_f32_e32 v88, v94, v90
	ds_write2_b64 v119, v[0:1], v[4:5] offset1:7
	ds_write2_b64 v119, v[6:7], v[8:9] offset0:14 offset1:21
	ds_write2_b64 v119, v[10:11], v[12:13] offset0:28 offset1:35
	ds_write_b64 v119, v[14:15] offset:336
	ds_write2_b64 v118, v[2:3], v[85:86] offset1:7
	ds_write2_b64 v118, v[20:21], v[16:17] offset0:14 offset1:21
	ds_write2_b64 v118, v[18:19], v[22:23] offset0:28 offset1:35
	ds_write_b64 v118, v[87:88] offset:336
	s_waitcnt lgkmcnt(0)
	s_barrier
	buffer_gl0_inv
	ds_read2_b64 v[6:9], v111 offset0:98 offset1:147
	ds_read2_b64 v[10:13], v111 offset0:196 offset1:245
	;; [unrolled: 1-line block ×6, first 2 shown]
	ds_read2_b64 v[93:96], v111 offset1:49
	s_waitcnt lgkmcnt(0)
	s_barrier
	buffer_gl0_inv
	v_add_co_u32 v0, vcc_lo, v40, s2
	v_add_co_ci_u32_e32 v1, vcc_lo, s3, v41, vcc_lo
	v_add_co_u32 v2, vcc_lo, v0, s2
	v_add_co_ci_u32_e32 v3, vcc_lo, s3, v1, vcc_lo
	;; [unrolled: 2-line block ×3, first 2 shown]
	v_mul_f32_e32 v22, v25, v7
	v_mul_f32_e32 v23, v25, v6
	;; [unrolled: 1-line block ×24, first 2 shown]
	v_fmac_f32_e32 v22, v24, v6
	v_fma_f32 v6, v24, v7, -v23
	v_fmac_f32_e32 v98, v24, v8
	v_fmac_f32_e32 v70, v26, v10
	v_fma_f32 v8, v26, v11, -v97
	v_fmac_f32_e32 v100, v28, v14
	v_fmac_f32_e32 v102, v28, v16
	;; [unrolled: 1-line block ×3, first 2 shown]
	v_fma_f32 v14, v32, v86, -v107
	v_fmac_f32_e32 v109, v34, v89
	v_fma_f32 v16, v34, v90, -v110
	v_fma_f32 v7, v24, v9, -v25
	v_fmac_f32_e32 v99, v26, v12
	v_fma_f32 v9, v26, v13, -v27
	v_fma_f32 v10, v28, v15, -v101
	;; [unrolled: 1-line block ×3, first 2 shown]
	v_fmac_f32_e32 v103, v30, v18
	v_fma_f32 v12, v30, v19, -v104
	v_fmac_f32_e32 v105, v30, v20
	v_fma_f32 v13, v30, v21, -v31
	;; [unrolled: 2-line block ×4, first 2 shown]
	v_add_f32_e32 v18, v22, v109
	v_add_f32_e32 v19, v70, v106
	;; [unrolled: 1-line block ×12, first 2 shown]
	v_sub_f32_e32 v22, v22, v109
	v_sub_f32_e32 v6, v6, v16
	;; [unrolled: 1-line block ×12, first 2 shown]
	v_add_f32_e32 v13, v19, v18
	v_add_f32_e32 v31, v23, v21
	;; [unrolled: 1-line block ×4, first 2 shown]
	v_sub_f32_e32 v34, v18, v20
	v_sub_f32_e32 v35, v20, v19
	;; [unrolled: 1-line block ×4, first 2 shown]
	v_add_f32_e32 v86, v14, v16
	v_sub_f32_e32 v87, v14, v16
	v_add_f32_e32 v88, v10, v8
	v_sub_f32_e32 v89, v10, v8
	v_sub_f32_e32 v18, v19, v18
	;; [unrolled: 1-line block ×11, first 2 shown]
	v_add_f32_e32 v90, v15, v17
	v_sub_f32_e32 v91, v15, v17
	v_sub_f32_e32 v17, v17, v12
	v_add_f32_e32 v92, v11, v9
	v_sub_f32_e32 v97, v11, v9
	v_sub_f32_e32 v98, v9, v7
	v_add_f32_e32 v13, v20, v13
	v_add_f32_e32 v20, v24, v31
	v_sub_f32_e32 v14, v22, v14
	v_sub_f32_e32 v10, v6, v10
	;; [unrolled: 1-line block ×3, first 2 shown]
	v_add_f32_e32 v24, v27, v32
	v_add_f32_e32 v27, v30, v33
	;; [unrolled: 1-line block ×3, first 2 shown]
	v_mul_f32_e32 v31, 0x3f4a47b2, v34
	v_mul_f32_e32 v32, 0x3f08b237, v87
	;; [unrolled: 1-line block ×7, first 2 shown]
	v_add_f32_e32 v12, v90, v12
	v_mul_f32_e32 v90, 0x3f4a47b2, v8
	v_mul_f32_e32 v28, 0x3f4a47b2, v28
	;; [unrolled: 1-line block ×5, first 2 shown]
	v_sub_f32_e32 v11, v7, v11
	v_add_f32_e32 v89, v92, v7
	v_mul_f32_e32 v97, 0x3f08b237, v97
	v_mul_f32_e32 v101, 0x3f5ff5aa, v98
	v_add_f32_e32 v6, v93, v13
	v_add_f32_e32 v7, v94, v20
	;; [unrolled: 1-line block ×3, first 2 shown]
	v_mul_f32_e32 v86, 0x3d64c772, v85
	v_mul_f32_e32 v92, 0x3d64c772, v25
	v_add_f32_e32 v8, v95, v24
	v_add_f32_e32 v9, v96, v27
	v_fmamk_f32 v93, v14, 0xbeae86e6, v32
	v_fmamk_f32 v94, v10, 0xbeae86e6, v34
	;; [unrolled: 1-line block ×3, first 2 shown]
	v_fma_f32 v16, 0xbf5ff5aa, v16, -v32
	v_fma_f32 v32, 0x3f3bfb3b, v18, -v70
	v_fmac_f32_e32 v87, 0x3eae86e6, v14
	v_fmac_f32_e32 v88, 0x3eae86e6, v10
	v_fma_f32 v10, 0xbf3bfb3b, v18, -v31
	v_fma_f32 v14, 0xbf3bfb3b, v19, -v33
	v_fmamk_f32 v18, v25, 0x3d64c772, v90
	v_fmamk_f32 v25, v29, 0x3d64c772, v28
	v_fma_f32 v29, 0x3f3bfb3b, v26, -v99
	v_fma_f32 v26, 0xbf3bfb3b, v26, -v28
	;; [unrolled: 1-line block ×3, first 2 shown]
	v_fmamk_f32 v33, v15, 0xbeae86e6, v91
	v_fmac_f32_e32 v100, 0x3eae86e6, v15
	v_fmamk_f32 v35, v35, 0x3d64c772, v31
	v_fmamk_f32 v70, v11, 0xbeae86e6, v97
	v_fmac_f32_e32 v101, 0x3eae86e6, v11
	v_fmamk_f32 v11, v13, 0xbf955555, v6
	v_fmamk_f32 v13, v20, 0xbf955555, v7
	v_fma_f32 v21, 0xbf5ff5aa, v21, -v34
	v_fma_f32 v34, 0x3f3bfb3b, v19, -v86
	;; [unrolled: 1-line block ×5, first 2 shown]
	v_fmac_f32_e32 v33, 0xbee1c552, v12
	v_fmac_f32_e32 v28, 0xbee1c552, v12
	;; [unrolled: 1-line block ×3, first 2 shown]
	v_fmamk_f32 v12, v24, 0xbf955555, v8
	v_fmamk_f32 v15, v27, 0xbf955555, v9
	v_fmac_f32_e32 v93, 0xbee1c552, v22
	v_fmac_f32_e32 v94, 0xbee1c552, v30
	;; [unrolled: 1-line block ×4, first 2 shown]
	v_add_f32_e32 v20, v35, v11
	v_add_f32_e32 v22, v85, v13
	v_fmac_f32_e32 v21, 0xbee1c552, v30
	v_fmac_f32_e32 v88, 0xbee1c552, v30
	v_add_f32_e32 v17, v32, v11
	v_add_f32_e32 v24, v34, v13
	;; [unrolled: 1-line block ×4, first 2 shown]
	v_fmac_f32_e32 v70, 0xbee1c552, v89
	v_fmac_f32_e32 v31, 0xbee1c552, v89
	;; [unrolled: 1-line block ×3, first 2 shown]
	v_add_f32_e32 v32, v18, v12
	v_add_f32_e32 v34, v19, v12
	;; [unrolled: 1-line block ×7, first 2 shown]
	v_sub_f32_e32 v11, v22, v93
	v_sub_f32_e32 v12, v17, v21
	v_add_f32_e32 v13, v16, v24
	v_add_f32_e32 v14, v21, v17
	v_sub_f32_e32 v15, v24, v16
	v_add_f32_e32 v16, v88, v27
	v_sub_f32_e32 v17, v30, v87
	v_sub_f32_e32 v18, v27, v88
	v_add_f32_e32 v19, v87, v30
	v_sub_f32_e32 v20, v20, v94
	v_add_f32_e32 v21, v93, v22
	;; [unrolled: 2-line block ×3, first 2 shown]
	v_add_f32_e32 v26, v101, v35
	v_sub_f32_e32 v27, v29, v100
	v_add_f32_e32 v30, v70, v32
	v_sub_f32_e32 v31, v85, v33
	;; [unrolled: 2-line block ×3, first 2 shown]
	v_sub_f32_e32 v28, v35, v101
	v_add_f32_e32 v29, v100, v29
	v_sub_f32_e32 v32, v32, v70
	v_add_f32_e32 v33, v33, v85
	ds_write2_b64 v111, v[6:7], v[10:11] offset1:49
	ds_write2_b64 v111, v[16:17], v[12:13] offset0:98 offset1:147
	ds_write2_b64 v111, v[14:15], v[18:19] offset0:196 offset1:245
	;; [unrolled: 1-line block ×6, first 2 shown]
	s_waitcnt lgkmcnt(0)
	s_barrier
	buffer_gl0_inv
	ds_read2_b64 v[6:9], v114 offset0:136 offset1:185
	ds_read2_b64 v[10:13], v113 offset0:106 offset1:155
	;; [unrolled: 1-line block ×4, first 2 shown]
	ds_read2_b64 v[22:25], v111 offset1:49
	ds_read2_b64 v[26:29], v111 offset0:98 offset1:147
	ds_read2_b64 v[30:33], v111 offset0:196 offset1:245
	v_add_co_u32 v34, vcc_lo, v4, s2
	v_add_co_ci_u32_e32 v35, vcc_lo, s3, v5, vcc_lo
	v_mad_u64_u32 v[85:86], null, 0xffffef28, s0, v[34:35]
	s_mov_b32 s0, 0x515a4f1d
	s_mov_b32 s1, 0x3f57e225
	v_add_nc_u32_e32 v86, s4, v86
	s_waitcnt lgkmcnt(6)
	v_mul_f32_e32 v70, v72, v7
	v_mul_f32_e32 v72, v72, v6
	s_waitcnt lgkmcnt(4)
	v_mul_f32_e32 v90, v84, v17
	v_mul_f32_e32 v84, v84, v16
	;; [unrolled: 1-line block ×8, first 2 shown]
	s_waitcnt lgkmcnt(3)
	v_mul_f32_e32 v91, v80, v19
	v_mul_f32_e32 v80, v80, v18
	;; [unrolled: 1-line block ×4, first 2 shown]
	v_fmac_f32_e32 v70, v71, v6
	v_fma_f32 v71, v71, v7, -v72
	v_fmac_f32_e32 v90, v83, v16
	v_fma_f32 v7, v83, v17, -v84
	;; [unrolled: 2-line block ×7, first 2 shown]
	s_waitcnt lgkmcnt(2)
	v_sub_f32_e32 v6, v22, v90
	v_sub_f32_e32 v7, v23, v7
	v_sub_f32_e32 v8, v24, v70
	v_sub_f32_e32 v9, v25, v71
	s_waitcnt lgkmcnt(1)
	v_sub_f32_e32 v10, v26, v87
	v_sub_f32_e32 v11, v27, v72
	v_sub_f32_e32 v12, v28, v88
	v_sub_f32_e32 v13, v29, v73
	;; [unrolled: 5-line block ×3, first 2 shown]
	v_sub_f32_e32 v20, v14, v92
	v_sub_f32_e32 v21, v15, v21
	v_fma_f32 v22, v22, 2.0, -v6
	v_fma_f32 v23, v23, 2.0, -v7
	;; [unrolled: 1-line block ×14, first 2 shown]
	ds_write_b64 v111, v[6:7] offset:2744
	ds_write2_b64 v111, v[22:23], v[24:25] offset1:49
	ds_write2_b64 v114, v[8:9], v[10:11] offset0:136 offset1:185
	ds_write2_b64 v111, v[26:27], v[28:29] offset0:98 offset1:147
	ds_write2_b64 v113, v[12:13], v[16:17] offset0:106 offset1:155
	ds_write2_b64 v111, v[30:31], v[32:33] offset0:196 offset1:245
	ds_write_b64 v111, v[14:15] offset:2352
	ds_write2_b64 v112, v[18:19], v[20:21] offset0:76 offset1:125
	s_waitcnt lgkmcnt(0)
	s_barrier
	buffer_gl0_inv
	ds_read2_b64 v[6:9], v111 offset1:49
	ds_read2_b64 v[10:13], v111 offset0:98 offset1:147
	ds_read2_b64 v[14:17], v111 offset0:196 offset1:245
	;; [unrolled: 1-line block ×6, first 2 shown]
	v_add_co_u32 v70, vcc_lo, v85, s2
	v_add_co_ci_u32_e32 v71, vcc_lo, s3, v86, vcc_lo
	v_add_co_u32 v72, vcc_lo, v70, s2
	v_add_co_ci_u32_e32 v73, vcc_lo, s3, v71, vcc_lo
	;; [unrolled: 2-line block ×3, first 2 shown]
	s_waitcnt lgkmcnt(6)
	v_mul_f32_e32 v78, v43, v7
	v_mul_f32_e32 v43, v43, v6
	s_waitcnt lgkmcnt(5)
	v_mul_f32_e32 v80, v47, v11
	v_mul_f32_e32 v47, v47, v10
	;; [unrolled: 1-line block ×6, first 2 shown]
	s_waitcnt lgkmcnt(4)
	v_mul_f32_e32 v82, v53, v15
	v_mul_f32_e32 v53, v53, v14
	s_waitcnt lgkmcnt(3)
	v_mul_f32_e32 v84, v55, v19
	v_mul_f32_e32 v55, v55, v18
	s_waitcnt lgkmcnt(2)
	v_mul_f32_e32 v87, v61, v23
	v_mul_f32_e32 v61, v61, v22
	s_waitcnt lgkmcnt(1)
	v_mul_f32_e32 v88, v57, v27
	v_mul_f32_e32 v57, v57, v26
	v_fmac_f32_e32 v78, v42, v6
	v_fma_f32 v42, v42, v7, -v43
	v_mul_f32_e32 v83, v51, v17
	v_mul_f32_e32 v51, v51, v16
	s_waitcnt lgkmcnt(0)
	v_mul_f32_e32 v90, v59, v31
	v_mul_f32_e32 v59, v59, v30
	v_fmac_f32_e32 v80, v46, v10
	v_fma_f32 v43, v46, v11, -v47
	v_fmac_f32_e32 v79, v48, v8
	v_fma_f32 v48, v48, v9, -v49
	;; [unrolled: 2-line block ×4, first 2 shown]
	v_mul_f32_e32 v89, v65, v21
	v_mul_f32_e32 v65, v65, v20
	v_fmac_f32_e32 v84, v54, v18
	v_fma_f32 v45, v54, v19, -v55
	v_mul_f32_e32 v91, v63, v25
	v_mul_f32_e32 v63, v63, v24
	v_fmac_f32_e32 v87, v60, v22
	v_fma_f32 v46, v60, v23, -v61
	v_mul_f32_e32 v92, v69, v29
	v_mul_f32_e32 v69, v69, v28
	v_fmac_f32_e32 v88, v56, v26
	v_fma_f32 v47, v56, v27, -v57
	v_cvt_f64_f32_e32 v[6:7], v78
	v_cvt_f64_f32_e32 v[8:9], v42
	v_mul_f32_e32 v93, v67, v33
	v_mul_f32_e32 v67, v67, v32
	v_fmac_f32_e32 v83, v50, v16
	v_fma_f32 v52, v50, v17, -v51
	v_fmac_f32_e32 v90, v58, v30
	v_fma_f32 v50, v58, v31, -v59
	v_cvt_f64_f32_e32 v[10:11], v80
	v_cvt_f64_f32_e32 v[12:13], v43
	;; [unrolled: 1-line block ×4, first 2 shown]
	v_fmac_f32_e32 v89, v64, v20
	v_fma_f32 v64, v64, v21, -v65
	v_cvt_f64_f32_e32 v[18:19], v84
	v_cvt_f64_f32_e32 v[20:21], v45
	v_fmac_f32_e32 v91, v62, v24
	v_fma_f32 v60, v62, v25, -v63
	v_cvt_f64_f32_e32 v[22:23], v87
	v_cvt_f64_f32_e32 v[24:25], v46
	;; [unrolled: 4-line block ×4, first 2 shown]
	v_cvt_f64_f32_e32 v[42:43], v79
	v_cvt_f64_f32_e32 v[44:45], v48
	;; [unrolled: 1-line block ×14, first 2 shown]
	v_mul_f64 v[6:7], v[6:7], s[0:1]
	v_mul_f64 v[8:9], v[8:9], s[0:1]
	v_mul_f64 v[10:11], v[10:11], s[0:1]
	v_mul_f64 v[12:13], v[12:13], s[0:1]
	v_mul_f64 v[14:15], v[14:15], s[0:1]
	v_mul_f64 v[16:17], v[16:17], s[0:1]
	v_mul_f64 v[18:19], v[18:19], s[0:1]
	v_mul_f64 v[20:21], v[20:21], s[0:1]
	v_mul_f64 v[22:23], v[22:23], s[0:1]
	v_mul_f64 v[24:25], v[24:25], s[0:1]
	v_mul_f64 v[26:27], v[26:27], s[0:1]
	v_mul_f64 v[28:29], v[28:29], s[0:1]
	v_mul_f64 v[30:31], v[30:31], s[0:1]
	v_mul_f64 v[32:33], v[32:33], s[0:1]
	v_mul_f64 v[42:43], v[42:43], s[0:1]
	v_mul_f64 v[44:45], v[44:45], s[0:1]
	v_mul_f64 v[46:47], v[46:47], s[0:1]
	v_mul_f64 v[48:49], v[48:49], s[0:1]
	v_mul_f64 v[50:51], v[50:51], s[0:1]
	v_mul_f64 v[52:53], v[52:53], s[0:1]
	v_mul_f64 v[54:55], v[54:55], s[0:1]
	v_mul_f64 v[56:57], v[56:57], s[0:1]
	v_mul_f64 v[58:59], v[58:59], s[0:1]
	v_mul_f64 v[60:61], v[60:61], s[0:1]
	v_mul_f64 v[62:63], v[62:63], s[0:1]
	v_mul_f64 v[64:65], v[64:65], s[0:1]
	v_mul_f64 v[66:67], v[66:67], s[0:1]
	v_mul_f64 v[68:69], v[68:69], s[0:1]
	v_cvt_f32_f64_e32 v6, v[6:7]
	v_cvt_f32_f64_e32 v7, v[8:9]
	;; [unrolled: 1-line block ×20, first 2 shown]
	v_add_co_u32 v76, vcc_lo, v74, s2
	v_cvt_f32_f64_e32 v26, v[54:55]
	v_cvt_f32_f64_e32 v27, v[56:57]
	;; [unrolled: 1-line block ×4, first 2 shown]
	v_add_co_ci_u32_e32 v77, vcc_lo, s3, v75, vcc_lo
	v_cvt_f32_f64_e32 v30, v[62:63]
	v_cvt_f32_f64_e32 v31, v[64:65]
	;; [unrolled: 1-line block ×4, first 2 shown]
	v_add_co_u32 v42, vcc_lo, v76, s2
	v_add_co_ci_u32_e32 v43, vcc_lo, s3, v77, vcc_lo
	v_add_co_u32 v44, vcc_lo, v42, s2
	v_add_co_ci_u32_e32 v45, vcc_lo, s3, v43, vcc_lo
	global_store_dwordx2 v[36:37], v[6:7], off
	global_store_dwordx2 v[38:39], v[8:9], off
	;; [unrolled: 1-line block ×14, first 2 shown]
.LBB0_2:
	s_endpgm
	.section	.rodata,"a",@progbits
	.p2align	6, 0x0
	.amdhsa_kernel bluestein_single_back_len686_dim1_sp_op_CI_CI
		.amdhsa_group_segment_fixed_size 5488
		.amdhsa_private_segment_fixed_size 0
		.amdhsa_kernarg_size 104
		.amdhsa_user_sgpr_count 6
		.amdhsa_user_sgpr_private_segment_buffer 1
		.amdhsa_user_sgpr_dispatch_ptr 0
		.amdhsa_user_sgpr_queue_ptr 0
		.amdhsa_user_sgpr_kernarg_segment_ptr 1
		.amdhsa_user_sgpr_dispatch_id 0
		.amdhsa_user_sgpr_flat_scratch_init 0
		.amdhsa_user_sgpr_private_segment_size 0
		.amdhsa_wavefront_size32 1
		.amdhsa_uses_dynamic_stack 0
		.amdhsa_system_sgpr_private_segment_wavefront_offset 0
		.amdhsa_system_sgpr_workgroup_id_x 1
		.amdhsa_system_sgpr_workgroup_id_y 0
		.amdhsa_system_sgpr_workgroup_id_z 0
		.amdhsa_system_sgpr_workgroup_info 0
		.amdhsa_system_vgpr_workitem_id 0
		.amdhsa_next_free_vgpr 140
		.amdhsa_next_free_sgpr 20
		.amdhsa_reserve_vcc 1
		.amdhsa_reserve_flat_scratch 0
		.amdhsa_float_round_mode_32 0
		.amdhsa_float_round_mode_16_64 0
		.amdhsa_float_denorm_mode_32 3
		.amdhsa_float_denorm_mode_16_64 3
		.amdhsa_dx10_clamp 1
		.amdhsa_ieee_mode 1
		.amdhsa_fp16_overflow 0
		.amdhsa_workgroup_processor_mode 1
		.amdhsa_memory_ordered 1
		.amdhsa_forward_progress 0
		.amdhsa_shared_vgpr_count 0
		.amdhsa_exception_fp_ieee_invalid_op 0
		.amdhsa_exception_fp_denorm_src 0
		.amdhsa_exception_fp_ieee_div_zero 0
		.amdhsa_exception_fp_ieee_overflow 0
		.amdhsa_exception_fp_ieee_underflow 0
		.amdhsa_exception_fp_ieee_inexact 0
		.amdhsa_exception_int_div_zero 0
	.end_amdhsa_kernel
	.text
.Lfunc_end0:
	.size	bluestein_single_back_len686_dim1_sp_op_CI_CI, .Lfunc_end0-bluestein_single_back_len686_dim1_sp_op_CI_CI
                                        ; -- End function
	.section	.AMDGPU.csdata,"",@progbits
; Kernel info:
; codeLenInByte = 11812
; NumSgprs: 22
; NumVgprs: 140
; ScratchSize: 0
; MemoryBound: 0
; FloatMode: 240
; IeeeMode: 1
; LDSByteSize: 5488 bytes/workgroup (compile time only)
; SGPRBlocks: 2
; VGPRBlocks: 17
; NumSGPRsForWavesPerEU: 22
; NumVGPRsForWavesPerEU: 140
; Occupancy: 7
; WaveLimiterHint : 1
; COMPUTE_PGM_RSRC2:SCRATCH_EN: 0
; COMPUTE_PGM_RSRC2:USER_SGPR: 6
; COMPUTE_PGM_RSRC2:TRAP_HANDLER: 0
; COMPUTE_PGM_RSRC2:TGID_X_EN: 1
; COMPUTE_PGM_RSRC2:TGID_Y_EN: 0
; COMPUTE_PGM_RSRC2:TGID_Z_EN: 0
; COMPUTE_PGM_RSRC2:TIDIG_COMP_CNT: 0
	.text
	.p2alignl 6, 3214868480
	.fill 48, 4, 3214868480
	.type	__hip_cuid_23b3eb0ee43425f8,@object ; @__hip_cuid_23b3eb0ee43425f8
	.section	.bss,"aw",@nobits
	.globl	__hip_cuid_23b3eb0ee43425f8
__hip_cuid_23b3eb0ee43425f8:
	.byte	0                               ; 0x0
	.size	__hip_cuid_23b3eb0ee43425f8, 1

	.ident	"AMD clang version 19.0.0git (https://github.com/RadeonOpenCompute/llvm-project roc-6.4.0 25133 c7fe45cf4b819c5991fe208aaa96edf142730f1d)"
	.section	".note.GNU-stack","",@progbits
	.addrsig
	.addrsig_sym __hip_cuid_23b3eb0ee43425f8
	.amdgpu_metadata
---
amdhsa.kernels:
  - .args:
      - .actual_access:  read_only
        .address_space:  global
        .offset:         0
        .size:           8
        .value_kind:     global_buffer
      - .actual_access:  read_only
        .address_space:  global
        .offset:         8
        .size:           8
        .value_kind:     global_buffer
      - .actual_access:  read_only
        .address_space:  global
        .offset:         16
        .size:           8
        .value_kind:     global_buffer
      - .actual_access:  read_only
        .address_space:  global
        .offset:         24
        .size:           8
        .value_kind:     global_buffer
      - .actual_access:  read_only
        .address_space:  global
        .offset:         32
        .size:           8
        .value_kind:     global_buffer
      - .offset:         40
        .size:           8
        .value_kind:     by_value
      - .address_space:  global
        .offset:         48
        .size:           8
        .value_kind:     global_buffer
      - .address_space:  global
        .offset:         56
        .size:           8
        .value_kind:     global_buffer
      - .address_space:  global
        .offset:         64
        .size:           8
        .value_kind:     global_buffer
      - .address_space:  global
        .offset:         72
        .size:           8
        .value_kind:     global_buffer
      - .offset:         80
        .size:           4
        .value_kind:     by_value
      - .address_space:  global
        .offset:         88
        .size:           8
        .value_kind:     global_buffer
      - .address_space:  global
        .offset:         96
        .size:           8
        .value_kind:     global_buffer
    .group_segment_fixed_size: 5488
    .kernarg_segment_align: 8
    .kernarg_segment_size: 104
    .language:       OpenCL C
    .language_version:
      - 2
      - 0
    .max_flat_workgroup_size: 49
    .name:           bluestein_single_back_len686_dim1_sp_op_CI_CI
    .private_segment_fixed_size: 0
    .sgpr_count:     22
    .sgpr_spill_count: 0
    .symbol:         bluestein_single_back_len686_dim1_sp_op_CI_CI.kd
    .uniform_work_group_size: 1
    .uses_dynamic_stack: false
    .vgpr_count:     140
    .vgpr_spill_count: 0
    .wavefront_size: 32
    .workgroup_processor_mode: 1
amdhsa.target:   amdgcn-amd-amdhsa--gfx1030
amdhsa.version:
  - 1
  - 2
...

	.end_amdgpu_metadata
